;; amdgpu-corpus repo=ROCm/rocFFT kind=compiled arch=gfx1030 opt=O3
	.text
	.amdgcn_target "amdgcn-amd-amdhsa--gfx1030"
	.amdhsa_code_object_version 6
	.protected	fft_rtc_fwd_len154_factors_11_7_2_wgs_110_tpt_22_sp_op_CI_CI_unitstride_sbrr_C2R_dirReg ; -- Begin function fft_rtc_fwd_len154_factors_11_7_2_wgs_110_tpt_22_sp_op_CI_CI_unitstride_sbrr_C2R_dirReg
	.globl	fft_rtc_fwd_len154_factors_11_7_2_wgs_110_tpt_22_sp_op_CI_CI_unitstride_sbrr_C2R_dirReg
	.p2align	8
	.type	fft_rtc_fwd_len154_factors_11_7_2_wgs_110_tpt_22_sp_op_CI_CI_unitstride_sbrr_C2R_dirReg,@function
fft_rtc_fwd_len154_factors_11_7_2_wgs_110_tpt_22_sp_op_CI_CI_unitstride_sbrr_C2R_dirReg: ; @fft_rtc_fwd_len154_factors_11_7_2_wgs_110_tpt_22_sp_op_CI_CI_unitstride_sbrr_C2R_dirReg
; %bb.0:
	s_load_dwordx4 s[12:15], s[4:5], 0x0
	v_mul_u32_u24_e32 v1, 0xba3, v0
	s_clause 0x1
	s_load_dwordx4 s[8:11], s[4:5], 0x58
	s_load_dwordx4 s[16:19], s[4:5], 0x18
	v_mov_b32_e32 v5, 0
	v_lshrrev_b32_e32 v3, 16, v1
	v_mov_b32_e32 v1, 0
	v_mov_b32_e32 v2, 0
	v_mad_u64_u32 v[3:4], null, s6, 5, v[3:4]
	v_mov_b32_e32 v4, v5
	v_mov_b32_e32 v25, v2
	;; [unrolled: 1-line block ×5, first 2 shown]
	s_waitcnt lgkmcnt(0)
	v_cmp_lt_u64_e64 s0, s[14:15], 2
	s_and_b32 vcc_lo, exec_lo, s0
	s_cbranch_vccnz .LBB0_8
; %bb.1:
	s_load_dwordx2 s[0:1], s[4:5], 0x10
	v_mov_b32_e32 v1, 0
	v_mov_b32_e32 v2, 0
	s_add_u32 s2, s18, 8
	v_mov_b32_e32 v8, v4
	s_addc_u32 s3, s19, 0
	v_mov_b32_e32 v7, v3
	v_mov_b32_e32 v25, v2
	s_add_u32 s6, s16, 8
	v_mov_b32_e32 v24, v1
	s_addc_u32 s7, s17, 0
	s_mov_b64 s[22:23], 1
	s_waitcnt lgkmcnt(0)
	s_add_u32 s20, s0, 8
	s_addc_u32 s21, s1, 0
.LBB0_2:                                ; =>This Inner Loop Header: Depth=1
	s_load_dwordx2 s[24:25], s[20:21], 0x0
                                        ; implicit-def: $vgpr26_vgpr27
	s_mov_b32 s0, exec_lo
	s_waitcnt lgkmcnt(0)
	v_or_b32_e32 v6, s25, v8
	v_cmpx_ne_u64_e32 0, v[5:6]
	s_xor_b32 s1, exec_lo, s0
	s_cbranch_execz .LBB0_4
; %bb.3:                                ;   in Loop: Header=BB0_2 Depth=1
	v_cvt_f32_u32_e32 v4, s24
	v_cvt_f32_u32_e32 v6, s25
	s_sub_u32 s0, 0, s24
	s_subb_u32 s26, 0, s25
	v_fmac_f32_e32 v4, 0x4f800000, v6
	v_rcp_f32_e32 v4, v4
	v_mul_f32_e32 v4, 0x5f7ffffc, v4
	v_mul_f32_e32 v6, 0x2f800000, v4
	v_trunc_f32_e32 v6, v6
	v_fmac_f32_e32 v4, 0xcf800000, v6
	v_cvt_u32_f32_e32 v6, v6
	v_cvt_u32_f32_e32 v4, v4
	v_mul_lo_u32 v9, s0, v6
	v_mul_hi_u32 v10, s0, v4
	v_mul_lo_u32 v11, s26, v4
	v_add_nc_u32_e32 v9, v10, v9
	v_mul_lo_u32 v10, s0, v4
	v_add_nc_u32_e32 v9, v9, v11
	v_mul_hi_u32 v11, v4, v10
	v_mul_lo_u32 v12, v4, v9
	v_mul_hi_u32 v13, v4, v9
	v_mul_hi_u32 v14, v6, v10
	v_mul_lo_u32 v10, v6, v10
	v_mul_hi_u32 v15, v6, v9
	v_mul_lo_u32 v9, v6, v9
	v_add_co_u32 v11, vcc_lo, v11, v12
	v_add_co_ci_u32_e32 v12, vcc_lo, 0, v13, vcc_lo
	v_add_co_u32 v10, vcc_lo, v11, v10
	v_add_co_ci_u32_e32 v10, vcc_lo, v12, v14, vcc_lo
	v_add_co_ci_u32_e32 v11, vcc_lo, 0, v15, vcc_lo
	v_add_co_u32 v9, vcc_lo, v10, v9
	v_add_co_ci_u32_e32 v10, vcc_lo, 0, v11, vcc_lo
	v_add_co_u32 v4, vcc_lo, v4, v9
	v_add_co_ci_u32_e32 v6, vcc_lo, v6, v10, vcc_lo
	v_mul_hi_u32 v9, s0, v4
	v_mul_lo_u32 v11, s26, v4
	v_mul_lo_u32 v10, s0, v6
	v_add_nc_u32_e32 v9, v9, v10
	v_mul_lo_u32 v10, s0, v4
	v_add_nc_u32_e32 v9, v9, v11
	v_mul_hi_u32 v11, v4, v10
	v_mul_lo_u32 v12, v4, v9
	v_mul_hi_u32 v13, v4, v9
	v_mul_hi_u32 v14, v6, v10
	v_mul_lo_u32 v10, v6, v10
	v_mul_hi_u32 v15, v6, v9
	v_mul_lo_u32 v9, v6, v9
	v_add_co_u32 v11, vcc_lo, v11, v12
	v_add_co_ci_u32_e32 v12, vcc_lo, 0, v13, vcc_lo
	v_add_co_u32 v10, vcc_lo, v11, v10
	v_add_co_ci_u32_e32 v10, vcc_lo, v12, v14, vcc_lo
	v_add_co_ci_u32_e32 v11, vcc_lo, 0, v15, vcc_lo
	v_add_co_u32 v9, vcc_lo, v10, v9
	v_add_co_ci_u32_e32 v10, vcc_lo, 0, v11, vcc_lo
	v_add_co_u32 v4, vcc_lo, v4, v9
	v_add_co_ci_u32_e32 v6, vcc_lo, v6, v10, vcc_lo
	v_mul_hi_u32 v15, v7, v4
	v_mad_u64_u32 v[11:12], null, v8, v4, 0
	v_mad_u64_u32 v[9:10], null, v7, v6, 0
	;; [unrolled: 1-line block ×3, first 2 shown]
	v_add_co_u32 v4, vcc_lo, v15, v9
	v_add_co_ci_u32_e32 v6, vcc_lo, 0, v10, vcc_lo
	v_add_co_u32 v4, vcc_lo, v4, v11
	v_add_co_ci_u32_e32 v4, vcc_lo, v6, v12, vcc_lo
	v_add_co_ci_u32_e32 v6, vcc_lo, 0, v14, vcc_lo
	v_add_co_u32 v4, vcc_lo, v4, v13
	v_add_co_ci_u32_e32 v6, vcc_lo, 0, v6, vcc_lo
	v_mul_lo_u32 v11, s25, v4
	v_mad_u64_u32 v[9:10], null, s24, v4, 0
	v_mul_lo_u32 v12, s24, v6
	v_sub_co_u32 v9, vcc_lo, v7, v9
	v_add3_u32 v10, v10, v12, v11
	v_sub_nc_u32_e32 v11, v8, v10
	v_subrev_co_ci_u32_e64 v11, s0, s25, v11, vcc_lo
	v_add_co_u32 v12, s0, v4, 2
	v_add_co_ci_u32_e64 v13, s0, 0, v6, s0
	v_sub_co_u32 v14, s0, v9, s24
	v_sub_co_ci_u32_e32 v10, vcc_lo, v8, v10, vcc_lo
	v_subrev_co_ci_u32_e64 v11, s0, 0, v11, s0
	v_cmp_le_u32_e32 vcc_lo, s24, v14
	v_cmp_eq_u32_e64 s0, s25, v10
	v_cndmask_b32_e64 v14, 0, -1, vcc_lo
	v_cmp_le_u32_e32 vcc_lo, s25, v11
	v_cndmask_b32_e64 v15, 0, -1, vcc_lo
	v_cmp_le_u32_e32 vcc_lo, s24, v9
	;; [unrolled: 2-line block ×3, first 2 shown]
	v_cndmask_b32_e64 v16, 0, -1, vcc_lo
	v_cmp_eq_u32_e32 vcc_lo, s25, v11
	v_cndmask_b32_e64 v9, v16, v9, s0
	v_cndmask_b32_e32 v11, v15, v14, vcc_lo
	v_add_co_u32 v14, vcc_lo, v4, 1
	v_add_co_ci_u32_e32 v15, vcc_lo, 0, v6, vcc_lo
	v_cmp_ne_u32_e32 vcc_lo, 0, v11
	v_cndmask_b32_e32 v10, v15, v13, vcc_lo
	v_cndmask_b32_e32 v11, v14, v12, vcc_lo
	v_cmp_ne_u32_e32 vcc_lo, 0, v9
	v_cndmask_b32_e32 v27, v6, v10, vcc_lo
	v_cndmask_b32_e32 v26, v4, v11, vcc_lo
.LBB0_4:                                ;   in Loop: Header=BB0_2 Depth=1
	s_andn2_saveexec_b32 s0, s1
	s_cbranch_execz .LBB0_6
; %bb.5:                                ;   in Loop: Header=BB0_2 Depth=1
	v_cvt_f32_u32_e32 v4, s24
	s_sub_i32 s1, 0, s24
	v_mov_b32_e32 v27, v5
	v_rcp_iflag_f32_e32 v4, v4
	v_mul_f32_e32 v4, 0x4f7ffffe, v4
	v_cvt_u32_f32_e32 v4, v4
	v_mul_lo_u32 v6, s1, v4
	v_mul_hi_u32 v6, v4, v6
	v_add_nc_u32_e32 v4, v4, v6
	v_mul_hi_u32 v4, v7, v4
	v_mul_lo_u32 v6, v4, s24
	v_add_nc_u32_e32 v9, 1, v4
	v_sub_nc_u32_e32 v6, v7, v6
	v_subrev_nc_u32_e32 v10, s24, v6
	v_cmp_le_u32_e32 vcc_lo, s24, v6
	v_cndmask_b32_e32 v6, v6, v10, vcc_lo
	v_cndmask_b32_e32 v4, v4, v9, vcc_lo
	v_cmp_le_u32_e32 vcc_lo, s24, v6
	v_add_nc_u32_e32 v9, 1, v4
	v_cndmask_b32_e32 v26, v4, v9, vcc_lo
.LBB0_6:                                ;   in Loop: Header=BB0_2 Depth=1
	s_or_b32 exec_lo, exec_lo, s0
	v_mul_lo_u32 v4, v27, s24
	v_mul_lo_u32 v6, v26, s25
	s_load_dwordx2 s[0:1], s[6:7], 0x0
	v_mad_u64_u32 v[9:10], null, v26, s24, 0
	s_load_dwordx2 s[24:25], s[2:3], 0x0
	s_add_u32 s22, s22, 1
	s_addc_u32 s23, s23, 0
	s_add_u32 s2, s2, 8
	s_addc_u32 s3, s3, 0
	s_add_u32 s6, s6, 8
	v_add3_u32 v4, v10, v6, v4
	v_sub_co_u32 v6, vcc_lo, v7, v9
	s_addc_u32 s7, s7, 0
	s_add_u32 s20, s20, 8
	v_sub_co_ci_u32_e32 v4, vcc_lo, v8, v4, vcc_lo
	s_addc_u32 s21, s21, 0
	s_waitcnt lgkmcnt(0)
	v_mul_lo_u32 v7, s0, v4
	v_mul_lo_u32 v8, s1, v6
	v_mad_u64_u32 v[1:2], null, s0, v6, v[1:2]
	v_mul_lo_u32 v4, s24, v4
	v_mul_lo_u32 v9, s25, v6
	v_mad_u64_u32 v[24:25], null, s24, v6, v[24:25]
	v_cmp_ge_u64_e64 s0, s[22:23], s[14:15]
	v_add3_u32 v2, v8, v2, v7
	v_add3_u32 v25, v9, v25, v4
	s_and_b32 vcc_lo, exec_lo, s0
	s_cbranch_vccnz .LBB0_8
; %bb.7:                                ;   in Loop: Header=BB0_2 Depth=1
	v_mov_b32_e32 v7, v26
	v_mov_b32_e32 v8, v27
	s_branch .LBB0_2
.LBB0_8:
	s_load_dwordx2 s[0:1], s[4:5], 0x28
	v_mul_hi_u32 v4, 0xcccccccd, v3
	v_mul_hi_u32 v6, 0xba2e8bb, v0
	s_lshl_b64 s[4:5], s[14:15], 3
                                        ; implicit-def: $vgpr28
	s_add_u32 s2, s18, s4
	s_addc_u32 s3, s19, s5
	v_lshrrev_b32_e32 v4, 2, v4
	v_lshl_add_u32 v4, v4, 2, v4
	v_sub_nc_u32_e32 v5, v3, v4
	s_waitcnt lgkmcnt(0)
	v_cmp_gt_u64_e32 vcc_lo, s[0:1], v[26:27]
	v_cmp_le_u64_e64 s0, s[0:1], v[26:27]
                                        ; implicit-def: $vgpr3_vgpr4
	s_and_saveexec_b32 s1, s0
	s_xor_b32 s0, exec_lo, s1
; %bb.9:
	v_mul_u32_u24_e32 v1, 22, v6
	v_mov_b32_e32 v29, 0
                                        ; implicit-def: $vgpr6
	v_sub_nc_u32_e32 v28, v0, v1
                                        ; implicit-def: $vgpr0
                                        ; implicit-def: $vgpr1_vgpr2
	v_mov_b32_e32 v3, v28
	v_mov_b32_e32 v4, v29
; %bb.10:
	s_or_saveexec_b32 s1, s0
	s_load_dwordx2 s[2:3], s[2:3], 0x0
	v_mul_u32_u24_e32 v5, 0x9b, v5
	v_lshlrev_b32_e32 v40, 3, v5
	s_xor_b32 exec_lo, exec_lo, s1
	s_cbranch_execz .LBB0_14
; %bb.11:
	s_add_u32 s4, s16, s4
	s_addc_u32 s5, s17, s5
	v_mul_u32_u24_e32 v6, 22, v6
	s_load_dwordx2 s[4:5], s[4:5], 0x0
	v_lshlrev_b64 v[1:2], 3, v[1:2]
	v_mov_b32_e32 v29, 0
	v_sub_nc_u32_e32 v28, v0, v6
	s_waitcnt lgkmcnt(0)
	v_mul_lo_u32 v7, s5, v26
	v_mul_lo_u32 v8, s4, v27
	v_mad_u64_u32 v[3:4], null, s4, v26, 0
	s_mov_b32 s4, exec_lo
	v_add3_u32 v4, v4, v8, v7
	v_lshlrev_b64 v[3:4], 3, v[3:4]
	v_add_co_u32 v0, s0, s8, v3
	v_add_co_ci_u32_e64 v3, s0, s9, v4, s0
	v_lshlrev_b32_e32 v4, 3, v28
	v_add_co_u32 v0, s0, v0, v1
	v_add_co_ci_u32_e64 v1, s0, v3, v2, s0
	v_add_co_u32 v2, s0, v0, v4
	v_add_co_ci_u32_e64 v3, s0, 0, v1, s0
	s_clause 0x6
	global_load_dwordx2 v[6:7], v[2:3], off
	global_load_dwordx2 v[8:9], v[2:3], off offset:176
	global_load_dwordx2 v[10:11], v[2:3], off offset:352
	;; [unrolled: 1-line block ×6, first 2 shown]
	v_add3_u32 v2, 0, v40, v4
	v_mov_b32_e32 v3, v28
	v_mov_b32_e32 v4, v29
	s_waitcnt vmcnt(5)
	ds_write2_b64 v2, v[6:7], v[8:9] offset1:22
	s_waitcnt vmcnt(3)
	ds_write2_b64 v2, v[10:11], v[12:13] offset0:44 offset1:66
	s_waitcnt vmcnt(1)
	ds_write2_b64 v2, v[14:15], v[16:17] offset0:88 offset1:110
	s_waitcnt vmcnt(0)
	ds_write_b64 v2, v[18:19] offset:1056
	v_cmpx_eq_u32_e32 21, v28
	s_cbranch_execz .LBB0_13
; %bb.12:
	global_load_dwordx2 v[0:1], v[0:1], off offset:1232
	v_mov_b32_e32 v3, 21
	v_mov_b32_e32 v4, 0
	;; [unrolled: 1-line block ×3, first 2 shown]
	s_waitcnt vmcnt(0)
	ds_write_b64 v2, v[0:1] offset:1064
.LBB0_13:
	s_or_b32 exec_lo, exec_lo, s4
.LBB0_14:
	s_or_b32 exec_lo, exec_lo, s1
	v_lshl_add_u32 v38, v5, 3, 0
	v_lshlrev_b32_e32 v0, 3, v28
	s_waitcnt lgkmcnt(0)
	s_barrier
	buffer_gl0_inv
	v_lshlrev_b64 v[30:31], 3, v[3:4]
	v_add_nc_u32_e32 v39, v38, v0
	v_sub_nc_u32_e32 v2, v38, v0
	s_mov_b32 s1, exec_lo
	ds_read_b32 v1, v39
	ds_read_b32 v6, v2 offset:1232
	s_waitcnt lgkmcnt(0)
	v_add_f32_e32 v0, v6, v1
	v_sub_f32_e32 v1, v1, v6
	v_cmpx_ne_u32_e32 0, v28
	s_xor_b32 s1, exec_lo, s1
	s_cbranch_execz .LBB0_16
; %bb.15:
	v_add_co_u32 v3, s0, s12, v30
	v_add_co_ci_u32_e64 v4, s0, s13, v31, s0
	global_load_dwordx2 v[3:4], v[3:4], off offset:1144
	ds_read_b32 v6, v2 offset:1236
	ds_read_b32 v7, v39 offset:4
	s_waitcnt lgkmcnt(0)
	v_add_f32_e32 v10, v6, v7
	v_sub_f32_e32 v6, v7, v6
	s_waitcnt vmcnt(0)
	v_fma_f32 v11, v1, v4, v0
	v_fma_f32 v7, v10, v4, v6
	v_fma_f32 v8, -v1, v4, v0
	v_fma_f32 v9, v10, v4, -v6
                                        ; implicit-def: $vgpr0
	v_fma_f32 v6, -v3, v10, v11
	v_fmac_f32_e32 v7, v1, v3
	v_fmac_f32_e32 v8, v3, v10
	;; [unrolled: 1-line block ×3, first 2 shown]
	ds_write_b64 v39, v[6:7]
	ds_write_b64 v2, v[8:9] offset:1232
.LBB0_16:
	s_andn2_saveexec_b32 s0, s1
	s_cbranch_execz .LBB0_18
; %bb.17:
	ds_write_b64 v39, v[0:1]
	ds_read_b64 v[0:1], v38 offset:616
	s_waitcnt lgkmcnt(0)
	v_add_f32_e32 v0, v0, v0
	v_mul_f32_e32 v1, -2.0, v1
	ds_write_b64 v38, v[0:1] offset:616
.LBB0_18:
	s_or_b32 exec_lo, exec_lo, s0
	v_mov_b32_e32 v29, 0
	s_add_u32 s0, s12, 0x478
	s_addc_u32 s1, s13, 0
	v_lshlrev_b64 v[32:33], 3, v[28:29]
	v_add_co_u32 v0, s0, s0, v32
	v_add_co_ci_u32_e64 v1, s0, s1, v33, s0
	v_cmp_gt_u32_e64 s0, 11, v28
	s_clause 0x1
	global_load_dwordx2 v[3:4], v[0:1], off offset:176
	global_load_dwordx2 v[6:7], v[0:1], off offset:352
	ds_read_b64 v[8:9], v39 offset:176
	ds_read_b64 v[10:11], v2 offset:1056
	s_waitcnt lgkmcnt(0)
	v_add_f32_e32 v12, v8, v10
	v_add_f32_e32 v13, v11, v9
	v_sub_f32_e32 v14, v8, v10
	v_sub_f32_e32 v8, v9, v11
	s_waitcnt vmcnt(1)
	v_fma_f32 v15, v14, v4, v12
	v_fma_f32 v9, v13, v4, v8
	v_fma_f32 v10, -v14, v4, v12
	v_fma_f32 v11, v13, v4, -v8
	v_fma_f32 v8, -v3, v13, v15
	v_fmac_f32_e32 v9, v14, v3
	v_fmac_f32_e32 v10, v3, v13
	;; [unrolled: 1-line block ×3, first 2 shown]
	ds_write_b64 v39, v[8:9] offset:176
	ds_write_b64 v2, v[10:11] offset:1056
	ds_read_b64 v[3:4], v39 offset:352
	ds_read_b64 v[8:9], v2 offset:880
	s_waitcnt lgkmcnt(0)
	v_add_f32_e32 v10, v3, v8
	v_add_f32_e32 v11, v9, v4
	v_sub_f32_e32 v12, v3, v8
	v_sub_f32_e32 v3, v4, v9
	s_waitcnt vmcnt(0)
	v_fma_f32 v13, v12, v7, v10
	v_fma_f32 v4, v11, v7, v3
	v_fma_f32 v8, -v12, v7, v10
	v_fma_f32 v9, v11, v7, -v3
	v_fma_f32 v3, -v6, v11, v13
	v_fmac_f32_e32 v4, v12, v6
	v_fmac_f32_e32 v8, v6, v11
	;; [unrolled: 1-line block ×3, first 2 shown]
	ds_write_b64 v39, v[3:4] offset:352
	ds_write_b64 v2, v[8:9] offset:880
	s_and_saveexec_b32 s1, s0
	s_cbranch_execz .LBB0_20
; %bb.19:
	global_load_dwordx2 v[0:1], v[0:1], off offset:528
	ds_read_b64 v[3:4], v39 offset:528
	ds_read_b64 v[6:7], v2 offset:704
	s_waitcnt lgkmcnt(0)
	v_add_f32_e32 v8, v3, v6
	v_add_f32_e32 v9, v7, v4
	v_sub_f32_e32 v10, v3, v6
	v_sub_f32_e32 v3, v4, v7
	s_waitcnt vmcnt(0)
	v_fma_f32 v11, v10, v1, v8
	v_fma_f32 v4, v9, v1, v3
	v_fma_f32 v6, -v10, v1, v8
	v_fma_f32 v7, v9, v1, -v3
	v_fma_f32 v3, -v0, v9, v11
	v_fmac_f32_e32 v4, v10, v0
	v_fmac_f32_e32 v6, v0, v9
	;; [unrolled: 1-line block ×3, first 2 shown]
	ds_write_b64 v39, v[3:4] offset:528
	ds_write_b64 v2, v[6:7] offset:704
.LBB0_20:
	s_or_b32 exec_lo, exec_lo, s1
	v_lshl_add_u32 v41, v28, 3, 0
	s_waitcnt lgkmcnt(0)
	s_barrier
	buffer_gl0_inv
	v_lshl_add_u32 v29, v5, 3, v41
	s_barrier
	buffer_gl0_inv
	s_mov_b32 s4, exec_lo
	ds_read2_b64 v[20:23], v29 offset0:14 offset1:28
	ds_read2_b64 v[4:7], v29 offset0:126 offset1:140
	ds_read2_b64 v[16:19], v29 offset0:42 offset1:56
	ds_read2_b64 v[8:11], v29 offset0:98 offset1:112
	ds_read2_b64 v[12:15], v29 offset0:70 offset1:84
	ds_read_b64 v[0:1], v39
	s_waitcnt lgkmcnt(0)
	s_barrier
	buffer_gl0_inv
	v_sub_f32_e32 v58, v20, v6
	v_sub_f32_e32 v54, v21, v7
	v_add_f32_e32 v42, v6, v20
	v_add_f32_e32 v50, v7, v21
	v_sub_f32_e32 v59, v22, v4
	v_sub_f32_e32 v53, v23, v5
	v_mul_f32_e32 v67, 0xbf4178ce, v54
	v_mul_f32_e32 v69, 0xbf4178ce, v58
	v_add_f32_e32 v43, v4, v22
	v_add_f32_e32 v45, v5, v23
	v_sub_f32_e32 v60, v16, v10
	v_sub_f32_e32 v55, v17, v11
	v_mul_f32_e32 v37, 0x3f7d64f0, v53
	v_mul_f32_e32 v68, 0x3f7d64f0, v59
	v_fmamk_f32 v2, v42, 0xbf27a4f4, v67
	v_fma_f32 v3, 0xbf27a4f4, v50, -v69
	v_add_f32_e32 v44, v10, v16
	v_add_f32_e32 v48, v11, v17
	v_sub_f32_e32 v57, v18, v8
	v_sub_f32_e32 v56, v19, v9
	v_mul_f32_e32 v63, 0xbf0a6770, v55
	v_mul_f32_e32 v66, 0xbf0a6770, v60
	v_fmamk_f32 v34, v43, 0xbe11bafb, v37
	v_add_f32_e32 v2, v0, v2
	v_fma_f32 v35, 0xbe11bafb, v45, -v68
	v_add_f32_e32 v3, v1, v3
	v_add_f32_e32 v46, v8, v18
	;; [unrolled: 1-line block ×3, first 2 shown]
	v_sub_f32_e32 v52, v13, v15
	v_sub_f32_e32 v61, v12, v14
	v_mul_f32_e32 v36, 0xbe903f40, v56
	v_mul_f32_e32 v64, 0xbe903f40, v57
	v_fmamk_f32 v70, v44, 0x3f575c64, v63
	v_add_f32_e32 v2, v34, v2
	v_fma_f32 v34, 0x3f575c64, v48, -v66
	v_add_f32_e32 v3, v35, v3
	v_add_f32_e32 v47, v14, v12
	;; [unrolled: 1-line block ×3, first 2 shown]
	v_mul_f32_e32 v62, 0x3f68dda4, v52
	v_mul_f32_e32 v65, 0x3f68dda4, v61
	v_fmamk_f32 v35, v46, 0xbf75a155, v36
	v_add_f32_e32 v2, v70, v2
	v_fma_f32 v70, 0xbf75a155, v51, -v64
	v_add_f32_e32 v3, v34, v3
	v_fmamk_f32 v34, v47, 0x3ed4b147, v62
	v_fma_f32 v71, 0x3ed4b147, v49, -v65
	v_add_f32_e32 v2, v35, v2
	v_add_f32_e32 v3, v70, v3
	;; [unrolled: 1-line block ×4, first 2 shown]
	v_cmpx_gt_u32_e32 14, v28
	s_cbranch_execz .LBB0_22
; %bb.21:
	v_mul_f32_e32 v34, 0xbf75a155, v50
	v_mul_f32_e32 v35, 0x3f575c64, v45
	v_mul_f32_e32 v72, 0xbe903f40, v54
	v_mul_f32_e32 v74, 0xbf27a4f4, v48
	v_mul_f32_e32 v75, 0x3f0a6770, v53
	v_fmamk_f32 v73, v58, 0x3e903f40, v34
	v_fmamk_f32 v76, v59, 0xbf0a6770, v35
	;; [unrolled: 1-line block ×3, first 2 shown]
	v_mul_f32_e32 v78, 0xbf4178ce, v55
	v_fmamk_f32 v79, v60, 0x3f4178ce, v74
	v_add_f32_e32 v73, v1, v73
	v_fmamk_f32 v80, v43, 0x3f575c64, v75
	v_add_f32_e32 v77, v0, v77
	v_mul_f32_e32 v81, 0x3f68dda4, v56
	v_fmamk_f32 v82, v44, 0xbf27a4f4, v78
	v_add_f32_e32 v73, v76, v73
	v_mul_f32_e32 v76, 0x3ed4b147, v51
	v_add_f32_e32 v77, v80, v77
	v_fmac_f32_e32 v34, 0xbe903f40, v58
	v_mul_f32_e32 v80, 0xbe11bafb, v49
	v_add_f32_e32 v73, v79, v73
	v_fmamk_f32 v79, v57, 0xbf68dda4, v76
	v_fma_f32 v72, 0xbf75a155, v42, -v72
	v_mul_f32_e32 v70, 0xbf27a4f4, v42
	v_mul_f32_e32 v71, 0xbf27a4f4, v50
	v_add_f32_e32 v77, v82, v77
	v_fmamk_f32 v82, v46, 0x3ed4b147, v81
	v_mul_f32_e32 v83, 0xbf7d64f0, v52
	v_add_f32_e32 v34, v1, v34
	v_fmac_f32_e32 v35, 0x3f0a6770, v59
	v_add_f32_e32 v73, v79, v73
	v_fmamk_f32 v79, v61, 0x3f7d64f0, v80
	v_add_f32_e32 v72, v0, v72
	v_fma_f32 v75, 0x3f575c64, v43, -v75
	v_add_f32_e32 v77, v82, v77
	v_fmamk_f32 v82, v47, 0xbe11bafb, v83
	v_add_f32_e32 v84, v35, v34
	v_mul_f32_e32 v85, 0xbe11bafb, v43
	v_fmac_f32_e32 v74, 0xbf4178ce, v60
	v_add_f32_e32 v35, v79, v73
	v_mul_f32_e32 v73, 0xbe11bafb, v45
	v_add_f32_e32 v69, v69, v71
	v_add_f32_e32 v72, v75, v72
	v_fma_f32 v78, 0xbf27a4f4, v44, -v78
	v_sub_f32_e32 v67, v70, v67
	v_add_f32_e32 v34, v82, v77
	v_add_f32_e32 v74, v74, v84
	v_fmac_f32_e32 v76, 0x3f68dda4, v57
	v_mul_f32_e32 v77, 0x3f575c64, v44
	v_mul_f32_e32 v79, 0x3f575c64, v48
	v_add_f32_e32 v69, v1, v69
	v_add_f32_e32 v68, v68, v73
	;; [unrolled: 1-line block ×4, first 2 shown]
	v_sub_f32_e32 v72, v85, v37
	v_add_f32_e32 v74, v76, v74
	v_mul_f32_e32 v76, 0xbf75a155, v46
	v_mul_f32_e32 v71, 0xbf75a155, v51
	v_add_f32_e32 v68, v68, v69
	v_add_f32_e32 v66, v66, v79
	v_fma_f32 v69, 0x3ed4b147, v46, -v81
	v_add_f32_e32 v67, v72, v67
	v_sub_f32_e32 v63, v77, v63
	v_mul_f32_e32 v75, 0x3ed4b147, v47
	v_mul_f32_e32 v73, 0x3ed4b147, v49
	v_add_f32_e32 v66, v66, v68
	v_add_f32_e32 v64, v64, v71
	;; [unrolled: 1-line block ×3, first 2 shown]
	v_fma_f32 v69, 0xbe11bafb, v47, -v83
	v_add_f32_e32 v67, v63, v67
	v_sub_f32_e32 v70, v76, v36
	v_add_f32_e32 v64, v64, v66
	v_add_f32_e32 v65, v65, v73
	v_mul_f32_e32 v66, 0xbf7d64f0, v58
	v_add_f32_e32 v36, v69, v68
	v_add_f32_e32 v67, v70, v67
	v_sub_f32_e32 v62, v75, v62
	v_mul_f32_e32 v68, 0xbf7d64f0, v54
	v_fmac_f32_e32 v80, 0xbf7d64f0, v61
	v_add_f32_e32 v63, v65, v64
	v_fmamk_f32 v64, v50, 0xbe11bafb, v66
	v_mul_f32_e32 v65, 0x3e903f40, v59
	v_add_f32_e32 v62, v62, v67
	v_fma_f32 v67, 0xbe11bafb, v42, -v68
	v_mul_f32_e32 v71, 0x3e903f40, v53
	v_add_f32_e32 v21, v1, v21
	v_add_f32_e32 v37, v80, v74
	;; [unrolled: 1-line block ×3, first 2 shown]
	v_fmamk_f32 v69, v45, 0xbf75a155, v65
	v_mul_f32_e32 v70, 0x3f68dda4, v60
	v_add_f32_e32 v67, v0, v67
	v_fma_f32 v73, 0xbf75a155, v43, -v71
	v_mul_f32_e32 v74, 0x3f68dda4, v55
	v_mul_f32_e32 v77, 0xbf68dda4, v58
	v_add_f32_e32 v20, v0, v20
	v_add_f32_e32 v23, v21, v23
	v_add_f32_e32 v64, v69, v64
	v_fmamk_f32 v69, v48, 0x3ed4b147, v70
	v_mul_f32_e32 v72, 0xbf0a6770, v57
	v_add_f32_e32 v67, v73, v67
	v_fma_f32 v73, 0x3ed4b147, v44, -v74
	v_mul_f32_e32 v76, 0xbf0a6770, v56
	v_fmamk_f32 v78, v50, 0x3ed4b147, v77
	v_mul_f32_e32 v79, 0xbf4178ce, v59
	v_add_f32_e32 v22, v20, v22
	v_add_f32_e32 v17, v23, v17
	v_add_f32_e32 v64, v69, v64
	v_fmamk_f32 v69, v51, 0x3f575c64, v72
	v_mul_f32_e32 v75, 0xbf4178ce, v61
	v_add_f32_e32 v67, v73, v67
	v_fma_f32 v73, 0x3f575c64, v46, -v76
	v_mul_f32_e32 v80, 0xbf4178ce, v52
	v_add_f32_e32 v78, v1, v78
	v_fmamk_f32 v81, v45, 0xbf27a4f4, v79
	v_mul_f32_e32 v82, 0x3e903f40, v60
	v_mul_f32_e32 v83, 0xbf68dda4, v54
	v_add_f32_e32 v16, v22, v16
	v_add_f32_e32 v17, v17, v19
	v_add_f32_e32 v64, v69, v64
	v_fmamk_f32 v69, v49, 0xbf27a4f4, v75
	v_add_f32_e32 v20, v73, v67
	v_fma_f32 v67, 0xbf27a4f4, v47, -v80
	v_add_f32_e32 v73, v81, v78
	v_fmamk_f32 v78, v48, 0xbf75a155, v82
	v_fma_f32 v81, 0x3ed4b147, v42, -v83
	v_mul_f32_e32 v84, 0xbf4178ce, v53
	v_add_f32_e32 v18, v16, v18
	v_add_f32_e32 v13, v17, v13
	v_add_f32_e32 v21, v69, v64
	v_add_f32_e32 v20, v67, v20
	v_add_f32_e32 v64, v78, v73
	v_add_f32_e32 v67, v0, v81
	v_fma_f32 v69, 0xbf27a4f4, v43, -v84
	v_mul_f32_e32 v73, 0x3e903f40, v55
	v_add_f32_e32 v12, v18, v12
	v_add_f32_e32 v13, v13, v15
	v_mul_f32_e32 v22, 0x3f7d64f0, v57
	v_add_f32_e32 v23, v69, v67
	v_fma_f32 v67, 0xbf75a155, v44, -v73
	v_mul_f32_e32 v19, 0xbf0a6770, v58
	v_add_f32_e32 v12, v12, v14
	v_add_f32_e32 v13, v13, v9
	v_fmamk_f32 v69, v51, 0xbe11bafb, v22
	v_mul_f32_e32 v78, 0x3f0a6770, v61
	v_add_f32_e32 v23, v67, v23
	v_fmamk_f32 v67, v50, 0x3f575c64, v19
	v_mul_f32_e32 v59, 0xbf68dda4, v59
	v_add_f32_e32 v11, v13, v11
	v_add_f32_e32 v8, v12, v8
	v_fma_f32 v12, 0xbe11bafb, v50, -v66
	v_add_f32_e32 v64, v69, v64
	v_fmamk_f32 v69, v49, 0x3f575c64, v78
	v_add_f32_e32 v67, v1, v67
	v_fmamk_f32 v85, v45, 0x3ed4b147, v59
	v_mul_f32_e32 v60, 0xbf7d64f0, v60
	v_mul_f32_e32 v18, 0xbf0a6770, v54
	v_add_f32_e32 v5, v11, v5
	v_add_f32_e32 v10, v8, v10
	;; [unrolled: 1-line block ×3, first 2 shown]
	v_fma_f32 v12, 0xbf75a155, v45, -v65
	v_fmac_f32_e32 v68, 0xbe11bafb, v42
	v_mul_f32_e32 v58, 0x3f7d64f0, v56
	v_add_f32_e32 v16, v69, v64
	v_add_f32_e32 v64, v85, v67
	v_fmamk_f32 v17, v48, 0xbe11bafb, v60
	v_mul_f32_e32 v54, 0xbf4178ce, v57
	v_fma_f32 v15, 0x3f575c64, v42, -v18
	v_mul_f32_e32 v53, 0xbf68dda4, v53
	v_add_f32_e32 v5, v5, v7
	v_add_f32_e32 v4, v10, v4
	;; [unrolled: 1-line block ×3, first 2 shown]
	v_fma_f32 v10, 0x3ed4b147, v48, -v70
	v_add_f32_e32 v11, v0, v68
	v_fmac_f32_e32 v71, 0xbf75a155, v43
	v_fma_f32 v81, 0xbe11bafb, v46, -v58
	v_mul_f32_e32 v14, 0x3f0a6770, v52
	v_add_f32_e32 v17, v17, v64
	v_fmamk_f32 v57, v51, 0xbf27a4f4, v54
	v_mul_f32_e32 v61, 0xbe903f40, v61
	v_add_f32_e32 v15, v0, v15
	v_fma_f32 v64, 0x3ed4b147, v43, -v53
	v_mul_f32_e32 v55, 0xbf7d64f0, v55
	v_add_f32_e32 v4, v4, v6
	v_fma_f32 v6, 0x3ed4b147, v50, -v77
	v_add_f32_e32 v7, v10, v7
	v_fma_f32 v10, 0x3f575c64, v51, -v72
	v_add_f32_e32 v11, v71, v11
	v_fmac_f32_e32 v74, 0x3ed4b147, v44
	v_add_f32_e32 v23, v81, v23
	v_fma_f32 v67, 0x3f575c64, v47, -v14
	v_add_f32_e32 v17, v57, v17
	v_fmamk_f32 v57, v49, 0xbf75a155, v61
	v_add_f32_e32 v64, v64, v15
	v_fma_f32 v69, 0xbe11bafb, v44, -v55
	v_mul_f32_e32 v56, 0xbf4178ce, v56
	v_add_f32_e32 v6, v1, v6
	v_fma_f32 v12, 0xbf27a4f4, v45, -v79
	v_add_f32_e32 v7, v10, v7
	v_fma_f32 v10, 0xbf27a4f4, v49, -v75
	v_add_f32_e32 v11, v74, v11
	v_fmac_f32_e32 v76, 0x3f575c64, v46
	v_add_f32_e32 v15, v67, v23
	v_add_f32_e32 v9, v57, v17
	;; [unrolled: 1-line block ×3, first 2 shown]
	v_fma_f32 v23, 0xbf27a4f4, v46, -v56
	v_mul_f32_e32 v52, 0xbe903f40, v52
	v_add_f32_e32 v6, v12, v6
	v_fma_f32 v12, 0xbf75a155, v48, -v82
	v_add_f32_e32 v7, v10, v7
	v_add_f32_e32 v10, v76, v11
	v_fmac_f32_e32 v80, 0xbf27a4f4, v47
	v_add_f32_e32 v13, v23, v17
	v_fma_f32 v17, 0xbf75a155, v47, -v52
	v_fmac_f32_e32 v83, 0x3ed4b147, v42
	v_add_f32_e32 v11, v12, v6
	v_add_f32_e32 v6, v80, v10
	v_fma_f32 v10, 0x3f575c64, v50, -v19
	v_fmac_f32_e32 v18, 0x3f575c64, v42
	v_add_f32_e32 v8, v17, v13
	v_fma_f32 v12, 0xbe11bafb, v51, -v22
	v_add_f32_e32 v13, v0, v83
	v_fmac_f32_e32 v84, 0xbf27a4f4, v43
	v_add_f32_e32 v1, v1, v10
	v_fma_f32 v10, 0x3ed4b147, v45, -v59
	v_add_f32_e32 v0, v0, v18
	v_fmac_f32_e32 v53, 0x3ed4b147, v43
	v_add_f32_e32 v11, v12, v11
	v_add_f32_e32 v12, v84, v13
	v_fmac_f32_e32 v73, 0xbf75a155, v44
	v_add_f32_e32 v1, v10, v1
	v_fma_f32 v10, 0xbe11bafb, v48, -v60
	v_add_f32_e32 v0, v53, v0
	v_fmac_f32_e32 v55, 0xbe11bafb, v44
	v_add_f32_e32 v12, v73, v12
	v_fmac_f32_e32 v58, 0xbe11bafb, v46
	v_add_f32_e32 v1, v10, v1
	v_fma_f32 v10, 0xbf27a4f4, v51, -v54
	v_add_f32_e32 v0, v55, v0
	v_fmac_f32_e32 v56, 0xbf27a4f4, v46
	v_mul_u32_u24_e32 v17, 0x50, v28
	v_fma_f32 v13, 0x3f575c64, v49, -v78
	v_add_f32_e32 v12, v58, v12
	v_fmac_f32_e32 v14, 0x3f575c64, v47
	v_add_f32_e32 v10, v10, v1
	v_fma_f32 v18, 0xbf75a155, v49, -v61
	v_add_f32_e32 v19, v56, v0
	v_fmac_f32_e32 v52, 0xbf75a155, v47
	v_add3_u32 v17, v41, v17, v40
	v_add_f32_e32 v1, v13, v11
	v_add_f32_e32 v0, v14, v12
	;; [unrolled: 1-line block ×4, first 2 shown]
	ds_write2_b64 v17, v[4:5], v[8:9] offset1:1
	ds_write2_b64 v17, v[15:16], v[20:21] offset0:2 offset1:3
	ds_write2_b64 v17, v[62:63], v[36:37] offset0:4 offset1:5
	;; [unrolled: 1-line block ×4, first 2 shown]
	ds_write_b64 v17, v[10:11] offset:80
.LBB0_22:
	s_or_b32 exec_lo, exec_lo, s4
	v_add_nc_u32_e32 v12, -11, v28
	v_mov_b32_e32 v1, 0
	s_waitcnt lgkmcnt(0)
	s_barrier
	buffer_gl0_inv
	v_cndmask_b32_e64 v21, v12, v28, s0
	v_mul_i32_i24_e32 v0, 6, v21
	v_lshlrev_b32_e32 v21, 3, v21
	v_lshlrev_b64 v[0:1], 3, v[0:1]
	v_add_co_u32 v0, s1, s12, v0
	v_add_co_ci_u32_e64 v1, s1, s13, v1, s1
	v_cmp_lt_u32_e64 s1, 10, v28
	s_clause 0x2
	global_load_dwordx4 v[4:7], v[0:1], off
	global_load_dwordx4 v[8:11], v[0:1], off offset:16
	global_load_dwordx4 v[13:16], v[0:1], off offset:32
	ds_read2_b64 v[17:20], v29 offset0:22 offset1:44
	ds_read2_b64 v[34:37], v29 offset0:66 offset1:88
	;; [unrolled: 1-line block ×3, first 2 shown]
	v_cndmask_b32_e64 v0, 0, 0x268, s1
	v_add_nc_u32_e32 v22, 0, v0
	ds_read_b64 v[0:1], v39
	s_waitcnt vmcnt(0) lgkmcnt(0)
	s_barrier
	buffer_gl0_inv
	v_add3_u32 v21, v22, v21, v40
	v_mul_f32_e32 v22, v5, v18
	v_mul_f32_e32 v5, v5, v17
	;; [unrolled: 1-line block ×12, first 2 shown]
	v_fma_f32 v17, v4, v17, -v22
	v_fmac_f32_e32 v5, v4, v18
	v_fma_f32 v4, v6, v19, -v23
	v_fmac_f32_e32 v7, v6, v20
	;; [unrolled: 2-line block ×3, first 2 shown]
	v_fma_f32 v8, v10, v36, -v45
	v_fma_f32 v18, v15, v43, -v47
	v_fmac_f32_e32 v16, v15, v44
	v_fmac_f32_e32 v11, v10, v37
	v_fma_f32 v10, v13, v41, -v46
	v_fmac_f32_e32 v14, v13, v42
	v_add_f32_e32 v13, v17, v18
	v_add_f32_e32 v15, v5, v16
	v_sub_f32_e32 v17, v17, v18
	v_sub_f32_e32 v5, v5, v16
	v_add_f32_e32 v16, v4, v10
	v_add_f32_e32 v18, v7, v14
	v_sub_f32_e32 v4, v4, v10
	v_sub_f32_e32 v7, v7, v14
	;; [unrolled: 4-line block ×4, first 2 shown]
	v_sub_f32_e32 v13, v13, v10
	v_sub_f32_e32 v15, v15, v14
	v_sub_f32_e32 v16, v10, v16
	v_sub_f32_e32 v18, v14, v18
	v_add_f32_e32 v22, v6, v4
	v_add_f32_e32 v23, v8, v7
	v_sub_f32_e32 v34, v6, v4
	v_sub_f32_e32 v35, v8, v7
	;; [unrolled: 1-line block ×3, first 2 shown]
	v_add_f32_e32 v9, v10, v9
	v_add_f32_e32 v10, v14, v11
	v_sub_f32_e32 v7, v7, v5
	v_sub_f32_e32 v6, v17, v6
	;; [unrolled: 1-line block ×3, first 2 shown]
	v_add_f32_e32 v11, v22, v17
	v_add_f32_e32 v14, v23, v5
	v_mul_f32_e32 v13, 0x3f4a47b2, v13
	v_mul_f32_e32 v15, 0x3f4a47b2, v15
	;; [unrolled: 1-line block ×7, first 2 shown]
	v_add_f32_e32 v4, v9, v0
	v_add_f32_e32 v5, v10, v1
	v_mul_f32_e32 v37, 0x3f5ff5aa, v7
	v_fmamk_f32 v0, v16, 0x3d64c772, v13
	v_fmamk_f32 v1, v18, 0x3d64c772, v15
	v_fma_f32 v16, 0x3f3bfb3b, v19, -v17
	v_fma_f32 v17, 0x3f3bfb3b, v20, -v22
	;; [unrolled: 1-line block ×4, first 2 shown]
	v_fmamk_f32 v18, v6, 0x3eae86e6, v23
	v_fmamk_f32 v19, v8, 0x3eae86e6, v34
	v_fma_f32 v20, 0x3f5ff5aa, v36, -v23
	v_fma_f32 v22, 0x3f5ff5aa, v7, -v34
	;; [unrolled: 1-line block ×3, first 2 shown]
	v_fmamk_f32 v6, v9, 0xbf955555, v4
	v_fmamk_f32 v7, v10, 0xbf955555, v5
	v_fma_f32 v34, 0xbeae86e6, v8, -v37
	v_fmac_f32_e32 v18, 0x3ee1c552, v11
	v_fmac_f32_e32 v19, 0x3ee1c552, v14
	v_add_f32_e32 v0, v0, v6
	v_add_f32_e32 v1, v1, v7
	v_fmac_f32_e32 v20, 0x3ee1c552, v11
	v_fmac_f32_e32 v22, 0x3ee1c552, v14
	;; [unrolled: 1-line block ×4, first 2 shown]
	v_add_f32_e32 v14, v16, v6
	v_add_f32_e32 v16, v13, v6
	;; [unrolled: 1-line block ×5, first 2 shown]
	v_sub_f32_e32 v7, v1, v18
	v_add_f32_e32 v8, v34, v16
	v_sub_f32_e32 v9, v35, v23
	v_sub_f32_e32 v10, v14, v22
	v_add_f32_e32 v11, v20, v15
	v_add_f32_e32 v13, v22, v14
	v_sub_f32_e32 v14, v15, v20
	v_sub_f32_e32 v15, v16, v34
	v_add_f32_e32 v16, v23, v35
	v_sub_f32_e32 v0, v0, v19
	v_add_f32_e32 v1, v18, v1
	ds_write2_b64 v21, v[4:5], v[6:7] offset1:11
	ds_write2_b64 v21, v[8:9], v[10:11] offset0:22 offset1:33
	ds_write2_b64 v21, v[13:14], v[15:16] offset0:44 offset1:55
	ds_write_b64 v21, v[0:1] offset:528
	s_waitcnt lgkmcnt(0)
	s_barrier
	buffer_gl0_inv
	ds_read2_b64 v[8:11], v29 offset0:77 offset1:99
	ds_read2_b64 v[4:7], v29 offset0:22 offset1:44
	ds_read_b64 v[13:14], v39
	ds_read_b64 v[15:16], v29 offset:968
	s_and_saveexec_b32 s1, s0
	s_cbranch_execz .LBB0_24
; %bb.23:
	ds_read2_b64 v[0:3], v29 offset0:66 offset1:143
	v_add_nc_u32_e32 v12, 0x42, v28
.LBB0_24:
	s_or_b32 exec_lo, exec_lo, s1
	v_add_co_u32 v17, s1, s12, v30
	v_add_co_ci_u32_e64 v18, s1, s13, v31, s1
	v_add_co_u32 v19, s1, s12, v32
	v_add_co_ci_u32_e64 v20, s1, s13, v33, s1
	s_clause 0x2
	global_load_dwordx2 v[17:18], v[17:18], off offset:528
	global_load_dwordx2 v[21:22], v[19:20], off offset:704
	;; [unrolled: 1-line block ×3, first 2 shown]
	s_waitcnt vmcnt(0) lgkmcnt(0)
	s_barrier
	buffer_gl0_inv
	v_mul_f32_e32 v23, v18, v9
	v_mul_f32_e32 v18, v18, v8
	;; [unrolled: 1-line block ×6, first 2 shown]
	v_fma_f32 v8, v17, v8, -v23
	v_fmac_f32_e32 v18, v17, v9
	v_fma_f32 v10, v21, v10, -v30
	v_fmac_f32_e32 v22, v21, v11
	;; [unrolled: 2-line block ×3, first 2 shown]
	v_sub_f32_e32 v8, v13, v8
	v_sub_f32_e32 v9, v14, v18
	;; [unrolled: 1-line block ×6, first 2 shown]
	v_fma_f32 v13, v13, 2.0, -v8
	v_fma_f32 v14, v14, 2.0, -v9
	;; [unrolled: 1-line block ×6, first 2 shown]
	ds_write2_b64 v29, v[13:14], v[4:5] offset1:22
	ds_write2_b64 v29, v[6:7], v[8:9] offset0:44 offset1:77
	ds_write2_b64 v29, v[10:11], v[15:16] offset0:99 offset1:121
	s_and_saveexec_b32 s1, s0
	s_cbranch_execz .LBB0_26
; %bb.25:
	v_mov_b32_e32 v13, 0
	v_lshlrev_b64 v[4:5], 3, v[12:13]
	v_add_co_u32 v4, s0, s12, v4
	v_add_co_ci_u32_e64 v5, s0, s13, v5, s0
	global_load_dwordx2 v[4:5], v[4:5], off offset:528
	s_waitcnt vmcnt(0)
	v_mul_f32_e32 v6, v2, v5
	v_mul_f32_e32 v5, v3, v5
	v_fmac_f32_e32 v6, v3, v4
	v_fma_f32 v2, v2, v4, -v5
	v_sub_f32_e32 v3, v1, v6
	v_sub_f32_e32 v2, v0, v2
	v_fma_f32 v1, v1, 2.0, -v3
	v_fma_f32 v0, v0, 2.0, -v2
	ds_write2_b64 v29, v[0:1], v[2:3] offset0:66 offset1:143
.LBB0_26:
	s_or_b32 exec_lo, exec_lo, s1
	s_waitcnt lgkmcnt(0)
	s_barrier
	buffer_gl0_inv
	s_and_saveexec_b32 s0, vcc_lo
	s_cbranch_execz .LBB0_28
; %bb.27:
	v_mul_lo_u32 v2, s3, v26
	v_mul_lo_u32 v3, s2, v27
	v_mad_u64_u32 v[0:1], null, s2, v26, 0
	v_lshl_add_u32 v16, v28, 3, v38
	v_mov_b32_e32 v29, 0
	v_lshlrev_b64 v[4:5], 3, v[24:25]
	v_add_nc_u32_e32 v8, 22, v28
	v_add_nc_u32_e32 v10, 44, v28
	v_add_nc_u32_e32 v14, 0x6e, v28
	v_add3_u32 v1, v1, v3, v2
	v_mov_b32_e32 v9, v29
	v_lshlrev_b64 v[11:12], 3, v[28:29]
	v_mov_b32_e32 v15, v29
	v_lshlrev_b64 v[6:7], 3, v[0:1]
	ds_read2_b64 v[0:3], v16 offset1:22
	v_lshlrev_b64 v[14:15], 3, v[14:15]
	v_add_co_u32 v6, vcc_lo, s10, v6
	v_add_co_ci_u32_e32 v7, vcc_lo, s11, v7, vcc_lo
	v_add_co_u32 v20, vcc_lo, v6, v4
	v_add_co_ci_u32_e32 v21, vcc_lo, v7, v5, vcc_lo
	v_lshlrev_b64 v[4:5], 3, v[8:9]
	v_add_co_u32 v8, vcc_lo, v20, v11
	v_add_co_ci_u32_e32 v9, vcc_lo, v21, v12, vcc_lo
	v_mov_b32_e32 v11, v29
	v_add_co_u32 v12, vcc_lo, v20, v4
	v_add_co_ci_u32_e32 v13, vcc_lo, v21, v5, vcc_lo
	ds_read2_b64 v[4:7], v16 offset0:44 offset1:66
	s_waitcnt lgkmcnt(1)
	global_store_dwordx2 v[8:9], v[0:1], off
	global_store_dwordx2 v[12:13], v[2:3], off
	v_lshlrev_b64 v[0:1], 3, v[10:11]
	v_add_nc_u32_e32 v2, 0x42, v28
	v_mov_b32_e32 v3, v29
	v_add_nc_u32_e32 v8, 0x58, v28
	v_mov_b32_e32 v9, v29
	v_add_nc_u32_e32 v28, 0x84, v28
	v_add_co_u32 v10, vcc_lo, v20, v0
	v_add_co_ci_u32_e32 v11, vcc_lo, v21, v1, vcc_lo
	v_lshlrev_b64 v[12:13], 3, v[2:3]
	ds_read2_b64 v[0:3], v16 offset0:88 offset1:110
	ds_read_b64 v[16:17], v16 offset:1056
	v_lshlrev_b64 v[8:9], 3, v[8:9]
	v_lshlrev_b64 v[18:19], 3, v[28:29]
	v_add_co_u32 v12, vcc_lo, v20, v12
	v_add_co_ci_u32_e32 v13, vcc_lo, v21, v13, vcc_lo
	v_add_co_u32 v8, vcc_lo, v20, v8
	v_add_co_ci_u32_e32 v9, vcc_lo, v21, v9, vcc_lo
	;; [unrolled: 2-line block ×4, first 2 shown]
	s_waitcnt lgkmcnt(2)
	global_store_dwordx2 v[10:11], v[4:5], off
	global_store_dwordx2 v[12:13], v[6:7], off
	s_waitcnt lgkmcnt(1)
	global_store_dwordx2 v[8:9], v[0:1], off
	global_store_dwordx2 v[14:15], v[2:3], off
	s_waitcnt lgkmcnt(0)
	global_store_dwordx2 v[18:19], v[16:17], off
.LBB0_28:
	s_endpgm
	.section	.rodata,"a",@progbits
	.p2align	6, 0x0
	.amdhsa_kernel fft_rtc_fwd_len154_factors_11_7_2_wgs_110_tpt_22_sp_op_CI_CI_unitstride_sbrr_C2R_dirReg
		.amdhsa_group_segment_fixed_size 0
		.amdhsa_private_segment_fixed_size 0
		.amdhsa_kernarg_size 104
		.amdhsa_user_sgpr_count 6
		.amdhsa_user_sgpr_private_segment_buffer 1
		.amdhsa_user_sgpr_dispatch_ptr 0
		.amdhsa_user_sgpr_queue_ptr 0
		.amdhsa_user_sgpr_kernarg_segment_ptr 1
		.amdhsa_user_sgpr_dispatch_id 0
		.amdhsa_user_sgpr_flat_scratch_init 0
		.amdhsa_user_sgpr_private_segment_size 0
		.amdhsa_wavefront_size32 1
		.amdhsa_uses_dynamic_stack 0
		.amdhsa_system_sgpr_private_segment_wavefront_offset 0
		.amdhsa_system_sgpr_workgroup_id_x 1
		.amdhsa_system_sgpr_workgroup_id_y 0
		.amdhsa_system_sgpr_workgroup_id_z 0
		.amdhsa_system_sgpr_workgroup_info 0
		.amdhsa_system_vgpr_workitem_id 0
		.amdhsa_next_free_vgpr 86
		.amdhsa_next_free_sgpr 27
		.amdhsa_reserve_vcc 1
		.amdhsa_reserve_flat_scratch 0
		.amdhsa_float_round_mode_32 0
		.amdhsa_float_round_mode_16_64 0
		.amdhsa_float_denorm_mode_32 3
		.amdhsa_float_denorm_mode_16_64 3
		.amdhsa_dx10_clamp 1
		.amdhsa_ieee_mode 1
		.amdhsa_fp16_overflow 0
		.amdhsa_workgroup_processor_mode 1
		.amdhsa_memory_ordered 1
		.amdhsa_forward_progress 0
		.amdhsa_shared_vgpr_count 0
		.amdhsa_exception_fp_ieee_invalid_op 0
		.amdhsa_exception_fp_denorm_src 0
		.amdhsa_exception_fp_ieee_div_zero 0
		.amdhsa_exception_fp_ieee_overflow 0
		.amdhsa_exception_fp_ieee_underflow 0
		.amdhsa_exception_fp_ieee_inexact 0
		.amdhsa_exception_int_div_zero 0
	.end_amdhsa_kernel
	.text
.Lfunc_end0:
	.size	fft_rtc_fwd_len154_factors_11_7_2_wgs_110_tpt_22_sp_op_CI_CI_unitstride_sbrr_C2R_dirReg, .Lfunc_end0-fft_rtc_fwd_len154_factors_11_7_2_wgs_110_tpt_22_sp_op_CI_CI_unitstride_sbrr_C2R_dirReg
                                        ; -- End function
	.section	.AMDGPU.csdata,"",@progbits
; Kernel info:
; codeLenInByte = 6004
; NumSgprs: 29
; NumVgprs: 86
; ScratchSize: 0
; MemoryBound: 0
; FloatMode: 240
; IeeeMode: 1
; LDSByteSize: 0 bytes/workgroup (compile time only)
; SGPRBlocks: 3
; VGPRBlocks: 10
; NumSGPRsForWavesPerEU: 29
; NumVGPRsForWavesPerEU: 86
; Occupancy: 10
; WaveLimiterHint : 1
; COMPUTE_PGM_RSRC2:SCRATCH_EN: 0
; COMPUTE_PGM_RSRC2:USER_SGPR: 6
; COMPUTE_PGM_RSRC2:TRAP_HANDLER: 0
; COMPUTE_PGM_RSRC2:TGID_X_EN: 1
; COMPUTE_PGM_RSRC2:TGID_Y_EN: 0
; COMPUTE_PGM_RSRC2:TGID_Z_EN: 0
; COMPUTE_PGM_RSRC2:TIDIG_COMP_CNT: 0
	.text
	.p2alignl 6, 3214868480
	.fill 48, 4, 3214868480
	.type	__hip_cuid_27186bdfe918921e,@object ; @__hip_cuid_27186bdfe918921e
	.section	.bss,"aw",@nobits
	.globl	__hip_cuid_27186bdfe918921e
__hip_cuid_27186bdfe918921e:
	.byte	0                               ; 0x0
	.size	__hip_cuid_27186bdfe918921e, 1

	.ident	"AMD clang version 19.0.0git (https://github.com/RadeonOpenCompute/llvm-project roc-6.4.0 25133 c7fe45cf4b819c5991fe208aaa96edf142730f1d)"
	.section	".note.GNU-stack","",@progbits
	.addrsig
	.addrsig_sym __hip_cuid_27186bdfe918921e
	.amdgpu_metadata
---
amdhsa.kernels:
  - .args:
      - .actual_access:  read_only
        .address_space:  global
        .offset:         0
        .size:           8
        .value_kind:     global_buffer
      - .offset:         8
        .size:           8
        .value_kind:     by_value
      - .actual_access:  read_only
        .address_space:  global
        .offset:         16
        .size:           8
        .value_kind:     global_buffer
      - .actual_access:  read_only
        .address_space:  global
        .offset:         24
        .size:           8
        .value_kind:     global_buffer
      - .actual_access:  read_only
        .address_space:  global
        .offset:         32
        .size:           8
        .value_kind:     global_buffer
      - .offset:         40
        .size:           8
        .value_kind:     by_value
      - .actual_access:  read_only
        .address_space:  global
        .offset:         48
        .size:           8
        .value_kind:     global_buffer
      - .actual_access:  read_only
        .address_space:  global
        .offset:         56
        .size:           8
        .value_kind:     global_buffer
      - .offset:         64
        .size:           4
        .value_kind:     by_value
      - .actual_access:  read_only
        .address_space:  global
        .offset:         72
        .size:           8
        .value_kind:     global_buffer
      - .actual_access:  read_only
        .address_space:  global
        .offset:         80
        .size:           8
        .value_kind:     global_buffer
      - .actual_access:  read_only
        .address_space:  global
        .offset:         88
        .size:           8
        .value_kind:     global_buffer
      - .actual_access:  write_only
        .address_space:  global
        .offset:         96
        .size:           8
        .value_kind:     global_buffer
    .group_segment_fixed_size: 0
    .kernarg_segment_align: 8
    .kernarg_segment_size: 104
    .language:       OpenCL C
    .language_version:
      - 2
      - 0
    .max_flat_workgroup_size: 110
    .name:           fft_rtc_fwd_len154_factors_11_7_2_wgs_110_tpt_22_sp_op_CI_CI_unitstride_sbrr_C2R_dirReg
    .private_segment_fixed_size: 0
    .sgpr_count:     29
    .sgpr_spill_count: 0
    .symbol:         fft_rtc_fwd_len154_factors_11_7_2_wgs_110_tpt_22_sp_op_CI_CI_unitstride_sbrr_C2R_dirReg.kd
    .uniform_work_group_size: 1
    .uses_dynamic_stack: false
    .vgpr_count:     86
    .vgpr_spill_count: 0
    .wavefront_size: 32
    .workgroup_processor_mode: 1
amdhsa.target:   amdgcn-amd-amdhsa--gfx1030
amdhsa.version:
  - 1
  - 2
...

	.end_amdgpu_metadata
